;; amdgpu-corpus repo=ROCm/rocFFT kind=compiled arch=gfx1030 opt=O3
	.text
	.amdgcn_target "amdgcn-amd-amdhsa--gfx1030"
	.amdhsa_code_object_version 6
	.protected	fft_rtc_fwd_len1452_factors_11_3_11_4_wgs_132_tpt_132_halfLds_half_op_CI_CI_unitstride_sbrr_dirReg ; -- Begin function fft_rtc_fwd_len1452_factors_11_3_11_4_wgs_132_tpt_132_halfLds_half_op_CI_CI_unitstride_sbrr_dirReg
	.globl	fft_rtc_fwd_len1452_factors_11_3_11_4_wgs_132_tpt_132_halfLds_half_op_CI_CI_unitstride_sbrr_dirReg
	.p2align	8
	.type	fft_rtc_fwd_len1452_factors_11_3_11_4_wgs_132_tpt_132_halfLds_half_op_CI_CI_unitstride_sbrr_dirReg,@function
fft_rtc_fwd_len1452_factors_11_3_11_4_wgs_132_tpt_132_halfLds_half_op_CI_CI_unitstride_sbrr_dirReg: ; @fft_rtc_fwd_len1452_factors_11_3_11_4_wgs_132_tpt_132_halfLds_half_op_CI_CI_unitstride_sbrr_dirReg
; %bb.0:
	s_clause 0x2
	s_load_dwordx4 s[8:11], s[4:5], 0x0
	s_load_dwordx4 s[12:15], s[4:5], 0x58
	;; [unrolled: 1-line block ×3, first 2 shown]
	v_mul_u32_u24_e32 v1, 0x1f1, v0
	v_mov_b32_e32 v7, 0
	v_mov_b32_e32 v5, 0
	;; [unrolled: 1-line block ×3, first 2 shown]
	v_add_nc_u32_sdwa v9, s6, v1 dst_sel:DWORD dst_unused:UNUSED_PAD src0_sel:DWORD src1_sel:WORD_1
	v_mov_b32_e32 v10, v7
	s_waitcnt lgkmcnt(0)
	v_cmp_lt_u64_e64 s0, s[10:11], 2
	s_and_b32 vcc_lo, exec_lo, s0
	s_cbranch_vccnz .LBB0_8
; %bb.1:
	s_load_dwordx2 s[0:1], s[4:5], 0x10
	v_mov_b32_e32 v5, 0
	v_mov_b32_e32 v6, 0
	s_add_u32 s2, s18, 8
	s_addc_u32 s3, s19, 0
	v_mov_b32_e32 v1, v5
	s_add_u32 s6, s16, 8
	v_mov_b32_e32 v2, v6
	s_addc_u32 s7, s17, 0
	s_mov_b64 s[22:23], 1
	s_waitcnt lgkmcnt(0)
	s_add_u32 s20, s0, 8
	s_addc_u32 s21, s1, 0
.LBB0_2:                                ; =>This Inner Loop Header: Depth=1
	s_load_dwordx2 s[24:25], s[20:21], 0x0
                                        ; implicit-def: $vgpr3_vgpr4
	s_mov_b32 s0, exec_lo
	s_waitcnt lgkmcnt(0)
	v_or_b32_e32 v8, s25, v10
	v_cmpx_ne_u64_e32 0, v[7:8]
	s_xor_b32 s1, exec_lo, s0
	s_cbranch_execz .LBB0_4
; %bb.3:                                ;   in Loop: Header=BB0_2 Depth=1
	v_cvt_f32_u32_e32 v3, s24
	v_cvt_f32_u32_e32 v4, s25
	s_sub_u32 s0, 0, s24
	s_subb_u32 s26, 0, s25
	v_fmac_f32_e32 v3, 0x4f800000, v4
	v_rcp_f32_e32 v3, v3
	v_mul_f32_e32 v3, 0x5f7ffffc, v3
	v_mul_f32_e32 v4, 0x2f800000, v3
	v_trunc_f32_e32 v4, v4
	v_fmac_f32_e32 v3, 0xcf800000, v4
	v_cvt_u32_f32_e32 v4, v4
	v_cvt_u32_f32_e32 v3, v3
	v_mul_lo_u32 v8, s0, v4
	v_mul_hi_u32 v11, s0, v3
	v_mul_lo_u32 v12, s26, v3
	v_add_nc_u32_e32 v8, v11, v8
	v_mul_lo_u32 v11, s0, v3
	v_add_nc_u32_e32 v8, v8, v12
	v_mul_hi_u32 v12, v3, v11
	v_mul_lo_u32 v13, v3, v8
	v_mul_hi_u32 v14, v3, v8
	v_mul_hi_u32 v15, v4, v11
	v_mul_lo_u32 v11, v4, v11
	v_mul_hi_u32 v16, v4, v8
	v_mul_lo_u32 v8, v4, v8
	v_add_co_u32 v12, vcc_lo, v12, v13
	v_add_co_ci_u32_e32 v13, vcc_lo, 0, v14, vcc_lo
	v_add_co_u32 v11, vcc_lo, v12, v11
	v_add_co_ci_u32_e32 v11, vcc_lo, v13, v15, vcc_lo
	v_add_co_ci_u32_e32 v12, vcc_lo, 0, v16, vcc_lo
	v_add_co_u32 v8, vcc_lo, v11, v8
	v_add_co_ci_u32_e32 v11, vcc_lo, 0, v12, vcc_lo
	v_add_co_u32 v3, vcc_lo, v3, v8
	v_add_co_ci_u32_e32 v4, vcc_lo, v4, v11, vcc_lo
	v_mul_hi_u32 v8, s0, v3
	v_mul_lo_u32 v12, s26, v3
	v_mul_lo_u32 v11, s0, v4
	v_add_nc_u32_e32 v8, v8, v11
	v_mul_lo_u32 v11, s0, v3
	v_add_nc_u32_e32 v8, v8, v12
	v_mul_hi_u32 v12, v3, v11
	v_mul_lo_u32 v13, v3, v8
	v_mul_hi_u32 v14, v3, v8
	v_mul_hi_u32 v15, v4, v11
	v_mul_lo_u32 v11, v4, v11
	v_mul_hi_u32 v16, v4, v8
	v_mul_lo_u32 v8, v4, v8
	v_add_co_u32 v12, vcc_lo, v12, v13
	v_add_co_ci_u32_e32 v13, vcc_lo, 0, v14, vcc_lo
	v_add_co_u32 v11, vcc_lo, v12, v11
	v_add_co_ci_u32_e32 v11, vcc_lo, v13, v15, vcc_lo
	v_add_co_ci_u32_e32 v12, vcc_lo, 0, v16, vcc_lo
	v_add_co_u32 v8, vcc_lo, v11, v8
	v_add_co_ci_u32_e32 v11, vcc_lo, 0, v12, vcc_lo
	v_add_co_u32 v8, vcc_lo, v3, v8
	v_add_co_ci_u32_e32 v13, vcc_lo, v4, v11, vcc_lo
	v_mul_hi_u32 v15, v9, v8
	v_mad_u64_u32 v[11:12], null, v10, v8, 0
	v_mad_u64_u32 v[3:4], null, v9, v13, 0
	;; [unrolled: 1-line block ×3, first 2 shown]
	v_add_co_u32 v3, vcc_lo, v15, v3
	v_add_co_ci_u32_e32 v4, vcc_lo, 0, v4, vcc_lo
	v_add_co_u32 v3, vcc_lo, v3, v11
	v_add_co_ci_u32_e32 v3, vcc_lo, v4, v12, vcc_lo
	v_add_co_ci_u32_e32 v4, vcc_lo, 0, v14, vcc_lo
	v_add_co_u32 v8, vcc_lo, v3, v13
	v_add_co_ci_u32_e32 v11, vcc_lo, 0, v4, vcc_lo
	v_mul_lo_u32 v12, s25, v8
	v_mad_u64_u32 v[3:4], null, s24, v8, 0
	v_mul_lo_u32 v13, s24, v11
	v_sub_co_u32 v3, vcc_lo, v9, v3
	v_add3_u32 v4, v4, v13, v12
	v_sub_nc_u32_e32 v12, v10, v4
	v_subrev_co_ci_u32_e64 v12, s0, s25, v12, vcc_lo
	v_add_co_u32 v13, s0, v8, 2
	v_add_co_ci_u32_e64 v14, s0, 0, v11, s0
	v_sub_co_u32 v15, s0, v3, s24
	v_sub_co_ci_u32_e32 v4, vcc_lo, v10, v4, vcc_lo
	v_subrev_co_ci_u32_e64 v12, s0, 0, v12, s0
	v_cmp_le_u32_e32 vcc_lo, s24, v15
	v_cmp_eq_u32_e64 s0, s25, v4
	v_cndmask_b32_e64 v15, 0, -1, vcc_lo
	v_cmp_le_u32_e32 vcc_lo, s25, v12
	v_cndmask_b32_e64 v16, 0, -1, vcc_lo
	v_cmp_le_u32_e32 vcc_lo, s24, v3
	;; [unrolled: 2-line block ×3, first 2 shown]
	v_cndmask_b32_e64 v17, 0, -1, vcc_lo
	v_cmp_eq_u32_e32 vcc_lo, s25, v12
	v_cndmask_b32_e64 v3, v17, v3, s0
	v_cndmask_b32_e32 v12, v16, v15, vcc_lo
	v_add_co_u32 v15, vcc_lo, v8, 1
	v_add_co_ci_u32_e32 v16, vcc_lo, 0, v11, vcc_lo
	v_cmp_ne_u32_e32 vcc_lo, 0, v12
	v_cndmask_b32_e32 v4, v16, v14, vcc_lo
	v_cndmask_b32_e32 v12, v15, v13, vcc_lo
	v_cmp_ne_u32_e32 vcc_lo, 0, v3
	v_cndmask_b32_e32 v4, v11, v4, vcc_lo
	v_cndmask_b32_e32 v3, v8, v12, vcc_lo
.LBB0_4:                                ;   in Loop: Header=BB0_2 Depth=1
	s_andn2_saveexec_b32 s0, s1
	s_cbranch_execz .LBB0_6
; %bb.5:                                ;   in Loop: Header=BB0_2 Depth=1
	v_cvt_f32_u32_e32 v3, s24
	s_sub_i32 s1, 0, s24
	v_rcp_iflag_f32_e32 v3, v3
	v_mul_f32_e32 v3, 0x4f7ffffe, v3
	v_cvt_u32_f32_e32 v3, v3
	v_mul_lo_u32 v4, s1, v3
	v_mul_hi_u32 v4, v3, v4
	v_add_nc_u32_e32 v3, v3, v4
	v_mul_hi_u32 v3, v9, v3
	v_mul_lo_u32 v4, v3, s24
	v_add_nc_u32_e32 v8, 1, v3
	v_sub_nc_u32_e32 v4, v9, v4
	v_subrev_nc_u32_e32 v11, s24, v4
	v_cmp_le_u32_e32 vcc_lo, s24, v4
	v_cndmask_b32_e32 v4, v4, v11, vcc_lo
	v_cndmask_b32_e32 v3, v3, v8, vcc_lo
	v_cmp_le_u32_e32 vcc_lo, s24, v4
	v_add_nc_u32_e32 v8, 1, v3
	v_mov_b32_e32 v4, v7
	v_cndmask_b32_e32 v3, v3, v8, vcc_lo
.LBB0_6:                                ;   in Loop: Header=BB0_2 Depth=1
	s_or_b32 exec_lo, exec_lo, s0
	v_mul_lo_u32 v8, v4, s24
	v_mul_lo_u32 v13, v3, s25
	s_load_dwordx2 s[0:1], s[6:7], 0x0
	v_mad_u64_u32 v[11:12], null, v3, s24, 0
	s_load_dwordx2 s[24:25], s[2:3], 0x0
	s_add_u32 s22, s22, 1
	s_addc_u32 s23, s23, 0
	s_add_u32 s2, s2, 8
	s_addc_u32 s3, s3, 0
	s_add_u32 s6, s6, 8
	v_add3_u32 v8, v12, v13, v8
	v_sub_co_u32 v9, vcc_lo, v9, v11
	s_addc_u32 s7, s7, 0
	s_add_u32 s20, s20, 8
	v_sub_co_ci_u32_e32 v8, vcc_lo, v10, v8, vcc_lo
	s_addc_u32 s21, s21, 0
	s_waitcnt lgkmcnt(0)
	v_mul_lo_u32 v10, s0, v8
	v_mul_lo_u32 v11, s1, v9
	v_mad_u64_u32 v[5:6], null, s0, v9, v[5:6]
	v_mul_lo_u32 v8, s24, v8
	v_mul_lo_u32 v12, s25, v9
	v_mad_u64_u32 v[1:2], null, s24, v9, v[1:2]
	v_cmp_ge_u64_e64 s0, s[22:23], s[10:11]
	v_add3_u32 v6, v11, v6, v10
	v_add3_u32 v2, v12, v2, v8
	s_and_b32 vcc_lo, exec_lo, s0
	s_cbranch_vccnz .LBB0_9
; %bb.7:                                ;   in Loop: Header=BB0_2 Depth=1
	v_mov_b32_e32 v10, v4
	v_mov_b32_e32 v9, v3
	s_branch .LBB0_2
.LBB0_8:
	v_mov_b32_e32 v1, v5
	v_mov_b32_e32 v3, v9
	;; [unrolled: 1-line block ×4, first 2 shown]
.LBB0_9:
	s_load_dwordx2 s[0:1], s[4:5], 0x28
	v_mul_hi_u32 v10, 0x1f07c20, v0
	s_lshl_b64 s[4:5], s[10:11], 3
                                        ; implicit-def: $sgpr6
                                        ; implicit-def: $vgpr7
	s_add_u32 s2, s18, s4
	s_addc_u32 s3, s19, s5
	s_waitcnt lgkmcnt(0)
	v_cmp_gt_u64_e32 vcc_lo, s[0:1], v[3:4]
	v_cmp_le_u64_e64 s0, s[0:1], v[3:4]
	s_and_saveexec_b32 s1, s0
	s_xor_b32 s0, exec_lo, s1
; %bb.10:
	v_mul_u32_u24_e32 v5, 0x84, v10
	s_mov_b32 s6, 0
                                        ; implicit-def: $vgpr10
	v_sub_nc_u32_e32 v7, v0, v5
                                        ; implicit-def: $vgpr0
                                        ; implicit-def: $vgpr5_vgpr6
; %bb.11:
	s_or_saveexec_b32 s1, s0
	v_mov_b32_e32 v8, s6
                                        ; implicit-def: $vgpr37
                                        ; implicit-def: $vgpr32
                                        ; implicit-def: $vgpr36
                                        ; implicit-def: $vgpr30
                                        ; implicit-def: $vgpr34
                                        ; implicit-def: $vgpr29
                                        ; implicit-def: $vgpr33
                                        ; implicit-def: $vgpr28
                                        ; implicit-def: $vgpr22
                                        ; implicit-def: $vgpr9
                                        ; implicit-def: $vgpr23
                                        ; implicit-def: $vgpr16
                                        ; implicit-def: $vgpr27
                                        ; implicit-def: $vgpr31
                                        ; implicit-def: $vgpr26
                                        ; implicit-def: $vgpr35
                                        ; implicit-def: $vgpr25
                                        ; implicit-def: $vgpr38
                                        ; implicit-def: $vgpr24
                                        ; implicit-def: $vgpr39
	s_xor_b32 exec_lo, exec_lo, s1
	s_cbranch_execz .LBB0_13
; %bb.12:
	s_add_u32 s4, s16, s4
	s_addc_u32 s5, s17, s5
	v_mul_u32_u24_e32 v10, 0x84, v10
	s_load_dwordx2 s[4:5], s[4:5], 0x0
	v_lshlrev_b64 v[5:6], 2, v[5:6]
	s_waitcnt lgkmcnt(0)
	v_mul_lo_u32 v9, s5, v3
	v_mul_lo_u32 v11, s4, v4
	v_mad_u64_u32 v[7:8], null, s4, v3, 0
	v_add3_u32 v8, v8, v11, v9
	v_lshlrev_b64 v[8:9], 2, v[7:8]
	v_sub_nc_u32_e32 v7, v0, v10
	v_add_co_u32 v0, s0, s12, v8
	v_add_co_ci_u32_e64 v8, s0, s13, v9, s0
	v_lshlrev_b32_e32 v9, 2, v7
	v_add_co_u32 v0, s0, v0, v5
	v_add_co_ci_u32_e64 v6, s0, v8, v6, s0
	v_add_co_u32 v5, s0, v0, v9
	v_add_co_ci_u32_e64 v6, s0, 0, v6, s0
	;; [unrolled: 2-line block ×4, first 2 shown]
	s_clause 0xa
	global_load_dword v32, v[5:6], off offset:528
	global_load_dword v30, v[5:6], off offset:1056
	;; [unrolled: 1-line block ×10, first 2 shown]
	global_load_dword v8, v[5:6], off
	s_waitcnt vmcnt(10)
	v_lshrrev_b32_e32 v37, 16, v32
	s_waitcnt vmcnt(9)
	v_lshrrev_b32_e32 v36, 16, v30
	;; [unrolled: 2-line block ×10, first 2 shown]
.LBB0_13:
	s_or_b32 exec_lo, exec_lo, s1
	v_sub_f16_e32 v6, v37, v24
	v_add_f16_e32 v5, v32, v39
	v_sub_f16_e32 v11, v36, v25
	v_add_f16_e32 v10, v30, v38
	v_sub_f16_e32 v13, v34, v26
	v_mul_f16_e32 v17, 0xb482, v6
	v_add_f16_e32 v12, v29, v35
	v_mul_f16_e32 v20, 0x3853, v11
	v_sub_f16_e32 v15, v33, v27
	v_mul_f16_e32 v41, 0xba0c, v13
	v_fma_f16 v21, v5, 0xbbad, -v17
	v_add_f16_e32 v14, v28, v31
	v_fma_f16 v42, v10, 0x3abb, -v20
	v_sub_f16_e32 v19, v22, v23
	v_mul_f16_e32 v43, 0x3b47, v15
	s_waitcnt vmcnt(0)
	v_add_f16_e32 v21, v21, v8
	v_pk_mul_f16 v44, 0x36a63abb, v5 op_sel_hi:[1,0]
	v_fma_f16 v45, v12, 0xb93d, -v41
	v_add_f16_e32 v18, v9, v16
	v_mul_f16_e32 v47, 0xbbeb, v19
	v_add_f16_e32 v21, v42, v21
	v_pk_mul_f16 v42, 0xb93d36a6, v10 op_sel_hi:[1,0]
	v_pk_fma_f16 v46, 0xbb47b853, v6, v44 op_sel_hi:[1,0,1] neg_lo:[0,1,0] neg_hi:[0,1,0]
	v_fma_f16 v48, v14, 0x36a6, -v43
	v_add_f16_e32 v0, v32, v8
	v_add_f16_e32 v21, v45, v21
	v_pk_fma_f16 v45, 0xba0cbb47, v11, v42 op_sel_hi:[1,0,1] neg_lo:[0,1,0] neg_hi:[0,1,0]
	v_pk_add_f16 v46, v46, v8 op_sel_hi:[1,0]
	v_pk_mul_f16 v49, 0xbbadb08e, v12 op_sel_hi:[1,0]
	v_fma_f16 v50, v18, 0xb08e, -v47
	v_add_f16_e32 v21, v48, v21
	v_add_f16_e32 v0, v30, v0
	v_pk_mul_f16 v48, 0xb93db08e, v5 op_sel_hi:[1,0]
	v_pk_mul_f16 v51, 0xba0cbbeb, v6 op_sel_hi:[1,0]
	v_pk_add_f16 v45, v45, v46
	v_pk_fma_f16 v46, 0x3482bbeb, v13, v49 op_sel_hi:[1,0,1] neg_lo:[0,1,0] neg_hi:[0,1,0]
	v_add_f16_e32 v21, v50, v21
	v_pk_mul_f16 v50, 0xb08eb93d, v14 op_sel_hi:[1,0]
	v_add_f16_e32 v0, v29, v0
	v_mul_f16_e32 v40, 0xbbad, v5
	v_add_f16_e32 v52, v51, v48
	v_pk_mul_f16 v53, 0xb08ebbad, v10 op_sel_hi:[1,0]
	v_pk_mul_f16 v54, 0x3beb3482, v11 op_sel_hi:[1,0]
	v_pk_fma_f16 v5, 0xb93db08e, v5, v51 op_sel_hi:[1,0,1] neg_lo:[0,0,1] neg_hi:[0,0,1]
	v_pk_add_f16 v45, v46, v45
	v_pk_fma_f16 v46, 0x3bebba0c, v15, v50 op_sel_hi:[1,0,1] neg_lo:[0,1,0] neg_hi:[0,1,0]
	v_add_f16_e32 v0, v28, v0
	v_add_f16_e32 v52, v52, v8
	;; [unrolled: 1-line block ×3, first 2 shown]
	v_pk_add_f16 v5, v5, v8 op_sel_hi:[1,0]
	v_pk_fma_f16 v56, 0xb08ebbad, v10, v54 op_sel_hi:[1,0,1] neg_lo:[0,0,1] neg_hi:[0,0,1]
	v_pk_add_f16 v45, v46, v45
	v_pk_mul_f16 v46, 0x3abbbbad, v18 op_sel_hi:[1,0]
	v_add_f16_e32 v0, v9, v0
	v_add_f16_e32 v52, v55, v52
	v_pk_mul_f16 v55, 0x3abb36a6, v12 op_sel_hi:[1,0]
	v_pk_add_f16 v5, v56, v5
	v_pk_mul_f16 v56, 0xb8533b47, v13 op_sel_hi:[1,0]
	v_bfi_b32 v17, 0xffff, v17, v51
	v_pk_fma_f16 v51, 0x3853b482, v19, v46 op_sel_hi:[1,0,1] neg_lo:[0,1,0] neg_hi:[0,1,0]
	v_mul_f16_e32 v10, 0x3abb, v10
	v_bfi_b32 v40, 0xffff, v40, v48
	v_add_f16_e32 v0, v16, v0
	v_add_f16_e32 v48, v56, v55
	v_pk_add_f16 v45, v51, v45
	v_pk_fma_f16 v51, 0x3abb36a6, v12, v56 op_sel_hi:[1,0,1] neg_lo:[0,0,1] neg_hi:[0,0,1]
	v_mul_f16_e32 v12, 0xb93d, v12
	v_pk_mul_f16 v57, 0xb482b853, v15 op_sel_hi:[1,0]
	v_pk_add_f16 v17, v17, v40
	v_bfi_b32 v20, 0xffff, v20, v54
	v_bfi_b32 v10, 0xffff, v10, v53
	v_pk_fma_f16 v6, 0xbb47b853, v6, v44 op_sel_hi:[1,0,1]
	v_add_f16_e32 v0, v31, v0
	v_add_f16_e32 v48, v48, v52
	v_mul_f16_e32 v52, 0x36a6, v14
	v_pk_fma_f16 v54, 0xbbad3abb, v14, v57 op_sel_hi:[1,0,1] neg_lo:[0,0,1] neg_hi:[0,0,1]
	v_pk_mul_f16 v14, 0xbbad3abb, v14 op_sel_hi:[1,0]
	v_pk_add_f16 v17, v17, v8 op_sel_hi:[1,0]
	v_pk_add_f16 v10, v20, v10
	v_bfi_b32 v20, 0xffff, v41, v56
	v_bfi_b32 v12, 0xffff, v12, v55
	v_pk_add_f16 v6, v6, v8 op_sel_hi:[1,0]
	v_pk_fma_f16 v11, 0xba0cbb47, v11, v42 op_sel_hi:[1,0,1]
	v_add_f16_e32 v0, v35, v0
	v_pk_add_f16 v51, v51, v5
	v_mul_f16_e32 v40, 0xb08e, v18
	v_pk_mul_f16 v53, 0x36a6b93d, v18 op_sel_hi:[1,0]
	v_pk_mul_f16 v41, 0x3b47ba0c, v19 op_sel_hi:[1,0]
	v_pk_add_f16 v10, v10, v17
	v_pk_add_f16 v12, v20, v12
	v_bfi_b32 v17, 0xffff, v43, v57
	v_bfi_b32 v20, 0xffff, v52, v14
	v_pk_add_f16 v6, v11, v6
	v_pk_fma_f16 v11, 0x3482bbeb, v13, v49 op_sel_hi:[1,0,1]
	v_add_f16_e32 v0, v38, v0
	v_pk_add_f16 v51, v54, v51
	v_pk_fma_f16 v18, 0x36a6b93d, v18, v41 op_sel_hi:[1,0,1] neg_lo:[0,0,1] neg_hi:[0,0,1]
	v_pk_add_f16 v10, v12, v10
	v_pk_add_f16 v12, v17, v20
	v_bfi_b32 v13, 0xffff, v47, v41
	v_bfi_b32 v17, 0xffff, v40, v53
	v_pk_add_f16 v6, v11, v6
	v_pk_fma_f16 v11, 0x3bebba0c, v15, v50 op_sel_hi:[1,0,1]
	v_add_f16_e32 v14, v57, v14
	v_add_f16_e32 v0, v39, v0
	v_pk_add_f16 v15, v18, v51
	v_pk_add_f16 v10, v12, v10
	;; [unrolled: 1-line block ×4, first 2 shown]
	v_pk_fma_f16 v11, 0x3853b482, v19, v46 op_sel_hi:[1,0,1]
	v_add_f16_e32 v14, v14, v48
	v_add_f16_e32 v17, v41, v53
	v_mad_u32_u24 v5, v7, 22, 0
	v_pk_add_f16 v13, v12, v10
	v_alignbit_b32 v12, v21, v15, 16
	v_pk_add_f16 v6, v11, v6
	v_alignbit_b32 v11, v15, v45, 16
	v_pack_b32_f16 v10, v0, v45
	v_add_f16_e32 v0, v17, v14
	s_load_dwordx2 s[2:3], s[2:3], 0x0
	v_alignbit_b32 v14, v6, v6, 16
	ds_write_b128 v5, v[10:13]
	ds_write_b16 v5, v0 offset:16
	v_mad_i32_i24 v0, 0xffffffec, v7, v5
	v_cmp_gt_u32_e64 s0, 0x58, v7
	ds_write_b32 v5, v14 offset:18
	s_waitcnt lgkmcnt(0)
	s_barrier
	buffer_gl0_inv
	ds_read_u16 v10, v0
	ds_read_u16 v11, v0 offset:264
	ds_read_u16 v14, v0 offset:2200
	;; [unrolled: 1-line block ×8, first 2 shown]
	v_lshrrev_b32_e32 v12, 16, v6
                                        ; implicit-def: $vgpr20
	s_and_saveexec_b32 s1, s0
	s_cbranch_execz .LBB0_15
; %bb.14:
	ds_read_u16 v12, v0 offset:792
	ds_read_u16 v6, v0 offset:1760
	;; [unrolled: 1-line block ×3, first 2 shown]
.LBB0_15:
	s_or_b32 exec_lo, exec_lo, s1
	v_add_f16_sdwa v40, v37, v8 dst_sel:DWORD dst_unused:UNUSED_PAD src0_sel:DWORD src1_sel:WORD_1
	v_sub_f16_e32 v32, v32, v39
	v_add_f16_e32 v39, v36, v25
	v_sub_f16_e32 v28, v28, v31
	v_add_f16_e32 v37, v37, v24
	v_add_f16_e32 v36, v36, v40
	v_sub_f16_e32 v30, v30, v38
	v_sub_f16_e32 v29, v29, v35
	v_pk_mul_f16 v45, 0xbb47b853, v32 op_sel_hi:[1,0]
	v_add_f16_e32 v38, v34, v26
	v_add_f16_e32 v31, v34, v36
	v_mul_f16_e32 v36, 0xb482, v32
	v_mul_f16_e32 v41, 0x3853, v30
	v_add_f16_e32 v35, v33, v27
	v_mul_f16_e32 v42, 0xba0c, v29
	v_add_f16_e32 v31, v33, v31
	v_fmamk_f16 v48, v37, 0xbbad, v36
	v_pk_mul_f16 v46, 0xba0cbb47, v30 op_sel_hi:[1,0]
	v_fmamk_f16 v50, v39, 0x3abb, v41
	v_pk_fma_f16 v52, 0x36a63abb, v37, v45 op_sel_hi:[1,0,1]
	v_add_f16_e32 v31, v22, v31
	v_add_f16_sdwa v48, v48, v8 dst_sel:DWORD dst_unused:UNUSED_PAD src0_sel:DWORD src1_sel:WORD_1
	v_mul_f16_e32 v44, 0x3b47, v28
	v_pk_mul_f16 v47, 0x3482bbeb, v29 op_sel_hi:[1,0]
	v_fmamk_f16 v51, v38, 0xb93d, v42
	v_add_f16_e32 v31, v23, v31
	v_pk_fma_f16 v53, 0xb93d36a6, v39, v46 op_sel_hi:[1,0,1]
	v_add_f16_e32 v48, v50, v48
	v_pk_fma_f16 v45, 0x36a63abb, v37, v45 op_sel_hi:[1,0,1] neg_lo:[0,0,1] neg_hi:[0,0,1]
	v_pk_add_f16 v50, v52, v8 op_sel:[0,1]
	v_add_f16_e32 v27, v27, v31
	v_fmamk_f16 v31, v35, 0x36a6, v44
	v_add_f16_e32 v48, v51, v48
	v_pk_add_f16 v45, v45, v8 op_sel:[0,1]
	v_pk_mul_f16 v49, 0x3bebba0c, v28 op_sel_hi:[1,0]
	v_add_f16_e32 v26, v26, v27
	v_pk_fma_f16 v27, 0xbbadb08e, v38, v47 op_sel_hi:[1,0,1]
	v_add_f16_e32 v31, v31, v48
	v_sub_f16_e32 v9, v9, v16
	v_pk_mul_f16 v30, 0x3beb3482, v30 op_sel_hi:[1,0]
	v_add_f16_e32 v25, v25, v26
	v_pk_fma_f16 v26, 0xb93d36a6, v39, v46 op_sel_hi:[1,0,1] neg_lo:[0,0,1] neg_hi:[0,0,1]
	v_pk_add_f16 v46, v53, v50
	v_mul_f16_e32 v34, 0xbbad, v37
	v_mul_f16_e32 v40, 0x3abb, v39
	v_add_f16_e32 v48, v24, v25
	v_pk_add_f16 v24, v26, v45
	v_pk_add_f16 v16, v27, v46
	v_pk_fma_f16 v25, 0xbbadb08e, v38, v47 op_sel_hi:[1,0,1] neg_lo:[0,0,1] neg_hi:[0,0,1]
	v_pk_mul_f16 v26, 0xb93db08e, v37 op_sel_hi:[1,0]
	v_pk_mul_f16 v27, 0xba0cbbeb, v32 op_sel_hi:[1,0]
	;; [unrolled: 1-line block ×4, first 2 shown]
	v_pk_add_f16 v24, v25, v24
	v_pk_fma_f16 v25, 0xb08eb93d, v35, v49 op_sel_hi:[1,0,1] neg_lo:[0,0,1] neg_hi:[0,0,1]
	v_sub_f16_e32 v32, v26, v27
	v_bfi_b32 v26, 0xffff, v34, v26
	v_mul_f16_e32 v33, 0xb93d, v38
	v_pk_mul_f16 v47, 0x3abb36a6, v38 op_sel_hi:[1,0]
	v_pk_add_f16 v24, v25, v24
	v_add_f16_sdwa v25, v32, v8 dst_sel:DWORD dst_unused:UNUSED_PAD src0_sel:DWORD src1_sel:WORD_1
	v_pk_fma_f16 v32, 0xb93db08e, v37, v27 op_sel_hi:[1,0,1]
	v_sub_f16_e32 v37, v45, v30
	v_bfi_b32 v27, 0xffff, v36, v27
	v_pk_mul_f16 v28, 0xb482b853, v28 op_sel_hi:[1,0]
	v_pk_fma_f16 v34, 0x3abb36a6, v38, v29 op_sel_hi:[1,0,1]
	v_pk_add_f16 v32, v32, v8 op_sel:[0,1]
	v_add_f16_e32 v25, v37, v25
	v_pk_fma_f16 v37, 0xb08ebbad, v39, v30 op_sel_hi:[1,0,1]
	v_pk_add_f16 v26, v26, v27 neg_lo:[0,1] neg_hi:[0,1]
	v_bfi_b32 v27, 0xffff, v40, v45
	v_bfi_b32 v30, 0xffff, v41, v30
	v_mul_f16_e32 v43, 0x36a6, v35
	v_pk_add_f16 v32, v37, v32
	v_add_f16_e32 v22, v22, v23
	v_pk_fma_f16 v23, 0xb08eb93d, v35, v49 op_sel_hi:[1,0,1]
	v_sub_f16_e32 v39, v47, v29
	v_pk_mul_f16 v49, 0xbbad3abb, v35 op_sel_hi:[1,0]
	v_pk_add_f16 v32, v34, v32
	v_pk_fma_f16 v34, 0xbbad3abb, v35, v28 op_sel_hi:[1,0,1]
	v_pk_add_f16 v8, v26, v8 op_sel:[0,1]
	v_pk_add_f16 v26, v27, v30 neg_lo:[0,1] neg_hi:[0,1]
	v_bfi_b32 v27, 0xffff, v33, v47
	v_bfi_b32 v29, 0xffff, v42, v29
	v_pk_add_f16 v16, v23, v16
	v_pk_mul_f16 v23, 0x3853b482, v9 op_sel_hi:[1,0]
	v_sub_f16_e32 v36, v49, v28
	v_pk_add_f16 v30, v34, v32
	v_pk_mul_f16 v32, 0x36a6b93d, v22 op_sel_hi:[1,0]
	v_pk_mul_f16 v33, 0x3b47ba0c, v9 op_sel_hi:[1,0]
	v_pk_add_f16 v8, v26, v8
	v_pk_add_f16 v26, v27, v29 neg_lo:[0,1] neg_hi:[0,1]
	v_bfi_b32 v27, 0xffff, v43, v49
	v_bfi_b32 v28, 0xffff, v44, v28
	v_mul_f16_e32 v29, 0xb08e, v22
	v_mul_f16_e32 v9, 0xbbeb, v9
	v_pk_fma_f16 v46, 0x3abbbbad, v22, v23 op_sel_hi:[1,0,1]
	v_add_f16_e32 v25, v39, v25
	v_pk_fma_f16 v34, 0x36a6b93d, v22, v33 op_sel_hi:[1,0,1]
	v_pk_add_f16 v8, v26, v8
	v_pk_add_f16 v26, v27, v28 neg_lo:[0,1] neg_hi:[0,1]
	v_bfi_b32 v27, 0xffff, v29, v32
	v_bfi_b32 v28, 0xffff, v9, v33
	v_fmamk_f16 v9, v22, 0xb08e, v9
	v_pk_fma_f16 v23, 0x3abbbbad, v22, v23 op_sel_hi:[1,0,1] neg_lo:[0,0,1] neg_hi:[0,0,1]
	v_add_f16_e32 v25, v36, v25
	v_sub_f16_e32 v22, v32, v33
	v_pk_add_f16 v29, v34, v30
	v_pk_add_f16 v26, v26, v8
	v_pk_add_f16 v27, v27, v28 neg_lo:[0,1] neg_hi:[0,1]
	v_add_f16_e32 v9, v9, v31
	v_pk_add_f16 v16, v46, v16
	v_pk_add_f16 v8, v23, v24
	v_add_f16_e32 v28, v22, v25
	v_pk_add_f16 v25, v27, v26
	v_alignbit_b32 v24, v9, v29, 16
	v_alignbit_b32 v23, v29, v16, 16
	v_pack_b32_f16 v22, v48, v16
	v_alignbit_b32 v9, v8, v8, 16
	s_waitcnt lgkmcnt(0)
	s_barrier
	buffer_gl0_inv
	ds_write_b128 v5, v[22:25]
	ds_write_b16 v5, v28 offset:16
	ds_write_b32 v5, v9 offset:18
	s_waitcnt lgkmcnt(0)
	s_barrier
	buffer_gl0_inv
	ds_read_u16 v24, v0
	ds_read_u16 v25, v0 offset:264
	ds_read_u16 v28, v0 offset:1232
	;; [unrolled: 1-line block ×8, first 2 shown]
	v_lshrrev_b32_e32 v23, 16, v8
                                        ; implicit-def: $vgpr32
	s_and_saveexec_b32 s1, s0
	s_cbranch_execz .LBB0_17
; %bb.16:
	ds_read_u16 v23, v0 offset:792
	ds_read_u16 v8, v0 offset:1760
	;; [unrolled: 1-line block ×3, first 2 shown]
.LBB0_17:
	s_or_b32 exec_lo, exec_lo, s1
	v_and_b32_e32 v22, 0xff, v7
	v_mov_b32_e32 v34, 0xba2f
	v_mov_b32_e32 v39, 3
	v_mul_lo_u16 v5, 0x75, v22
	v_lshrrev_b16 v5, 8, v5
	v_sub_nc_u16 v9, v7, v5
	v_lshrrev_b16 v9, 1, v9
	v_and_b32_e32 v27, 0x7f, v9
	v_add_nc_u32_e32 v9, 0x84, v7
	v_add_nc_u16 v27, v27, v5
	v_add_nc_u32_e32 v5, 0x108, v7
	v_mul_u32_u24_sdwa v35, v9, v34 dst_sel:DWORD dst_unused:UNUSED_PAD src0_sel:WORD_0 src1_sel:DWORD
	v_lshrrev_b16 v36, 3, v27
	v_add_nc_u32_e32 v27, 0x18c, v7
	v_mul_u32_u24_sdwa v37, v5, v34 dst_sel:DWORD dst_unused:UNUSED_PAD src0_sel:WORD_0 src1_sel:DWORD
	v_lshrrev_b32_e32 v35, 19, v35
	v_mul_lo_u16 v38, v36, 11
	v_mul_u32_u24_sdwa v34, v27, v34 dst_sel:DWORD dst_unused:UNUSED_PAD src0_sel:WORD_0 src1_sel:DWORD
	v_lshrrev_b32_e32 v37, 19, v37
	v_mul_lo_u16 v40, v35, 11
	v_mul_u32_u24_e32 v35, 0x42, v35
	v_sub_nc_u16 v38, v7, v38
	v_lshrrev_b32_e32 v34, 19, v34
	v_mul_lo_u16 v41, v37, 11
	v_sub_nc_u16 v42, v9, v40
	v_mul_u32_u24_e32 v37, 0x42, v37
	v_lshlrev_b32_sdwa v40, v39, v38 dst_sel:DWORD dst_unused:UNUSED_PAD src0_sel:DWORD src1_sel:BYTE_0
	v_mul_lo_u16 v43, v34, 11
	v_sub_nc_u16 v41, v5, v41
	v_lshlrev_b32_sdwa v44, v39, v42 dst_sel:DWORD dst_unused:UNUSED_PAD src0_sel:DWORD src1_sel:WORD_0
	v_mul_lo_u16 v34, v34, 33
	global_load_dwordx2 v[47:48], v40, s[8:9]
	v_sub_nc_u16 v27, v27, v43
	global_load_dwordx2 v[49:50], v44, s[8:9]
	v_lshlrev_b32_sdwa v40, v39, v41 dst_sel:DWORD dst_unused:UNUSED_PAD src0_sel:DWORD src1_sel:WORD_0
	v_lshlrev_b32_sdwa v39, v39, v27 dst_sel:DWORD dst_unused:UNUSED_PAD src0_sel:DWORD src1_sel:WORD_0
	s_clause 0x1
	global_load_dwordx2 v[51:52], v40, s[8:9]
	global_load_dwordx2 v[53:54], v39, s[8:9]
	v_mov_b32_e32 v40, 1
	s_waitcnt vmcnt(0) lgkmcnt(0)
	s_barrier
	buffer_gl0_inv
	v_lshlrev_b32_sdwa v39, v40, v42 dst_sel:DWORD dst_unused:UNUSED_PAD src0_sel:DWORD src1_sel:WORD_0
	v_mov_b32_e32 v42, 0x42
	v_lshlrev_b32_sdwa v38, v40, v38 dst_sel:DWORD dst_unused:UNUSED_PAD src0_sel:DWORD src1_sel:BYTE_0
	v_lshlrev_b32_sdwa v41, v40, v41 dst_sel:DWORD dst_unused:UNUSED_PAD src0_sel:DWORD src1_sel:WORD_0
	v_add3_u32 v35, 0, v35, v39
	v_mul_u32_u24_sdwa v39, v36, v42 dst_sel:DWORD dst_unused:UNUSED_PAD src0_sel:WORD_0 src1_sel:DWORD
	v_add3_u32 v36, 0, v37, v41
	v_add3_u32 v39, 0, v39, v38
	v_mul_f16_sdwa v55, v33, v47 dst_sel:DWORD dst_unused:UNUSED_PAD src0_sel:DWORD src1_sel:WORD_1
	v_mul_f16_sdwa v46, v21, v47 dst_sel:DWORD dst_unused:UNUSED_PAD src0_sel:DWORD src1_sel:WORD_1
	;; [unrolled: 1-line block ×6, first 2 shown]
	v_fma_f16 v21, v21, v47, -v55
	v_fmac_f16_e32 v46, v33, v47
	v_fma_f16 v33, v18, v48, -v56
	v_mul_f16_sdwa v59, v29, v51 dst_sel:DWORD dst_unused:UNUSED_PAD src0_sel:DWORD src1_sel:WORD_1
	v_mul_f16_sdwa v61, v8, v53 dst_sel:DWORD dst_unused:UNUSED_PAD src0_sel:DWORD src1_sel:WORD_1
	;; [unrolled: 1-line block ×6, first 2 shown]
	v_fmac_f16_e32 v45, v28, v49
	v_fma_f16 v28, v6, v53, -v61
	v_fmac_f16_e32 v38, v8, v53
	v_fma_f16 v8, v20, v54, -v62
	v_mul_f16_sdwa v42, v18, v48 dst_sel:DWORD dst_unused:UNUSED_PAD src0_sel:DWORD src1_sel:WORD_1
	v_mul_f16_sdwa v43, v14, v50 dst_sel:DWORD dst_unused:UNUSED_PAD src0_sel:DWORD src1_sel:WORD_1
	;; [unrolled: 1-line block ×3, first 2 shown]
	v_fma_f16 v18, v19, v49, -v57
	v_fma_f16 v19, v14, v50, -v58
	v_mul_f16_sdwa v44, v15, v51 dst_sel:DWORD dst_unused:UNUSED_PAD src0_sel:DWORD src1_sel:WORD_1
	v_fma_f16 v14, v15, v51, -v59
	v_fma_f16 v15, v17, v52, -v60
	v_fmac_f16_e32 v37, v32, v54
	v_add_f16_e32 v17, v21, v33
	v_add_f16_e32 v49, v28, v8
	v_fmac_f16_e32 v42, v31, v48
	v_fmac_f16_e32 v43, v16, v50
	;; [unrolled: 1-line block ×3, first 2 shown]
	v_add_f16_e32 v30, v18, v19
	v_fmac_f16_e32 v44, v29, v51
	v_add_f16_e32 v6, v10, v21
	v_add_f16_e32 v47, v14, v15
	v_sub_f16_e32 v16, v38, v37
	v_fmac_f16_e32 v10, -0.5, v17
	v_fma_f16 v17, -0.5, v49, v12
	v_sub_f16_e32 v20, v46, v42
	v_add_f16_e32 v32, v13, v14
	v_add_f16_e32 v29, v11, v18
	v_sub_f16_e32 v31, v45, v43
	v_fmac_f16_e32 v11, -0.5, v30
	v_sub_f16_e32 v48, v44, v41
	v_add_f16_e32 v50, v6, v33
	v_fmac_f16_e32 v13, -0.5, v47
	v_fmamk_f16 v6, v16, 0xbaee, v17
	v_add_f16_e32 v30, v32, v15
	v_fmamk_f16 v32, v20, 0x3aee, v10
	v_fmac_f16_e32 v10, 0xbaee, v20
	v_add_f16_e32 v29, v29, v19
	v_fmamk_f16 v20, v31, 0x3aee, v11
	v_fmac_f16_e32 v11, 0xbaee, v31
	v_fmamk_f16 v31, v48, 0x3aee, v13
	v_fmac_f16_e32 v13, 0xbaee, v48
	ds_write_b16 v39, v50
	ds_write_b16 v39, v32 offset:22
	ds_write_b16 v39, v10 offset:44
	ds_write_b16 v35, v29
	ds_write_b16 v35, v20 offset:22
	ds_write_b16 v35, v11 offset:44
	;; [unrolled: 3-line block ×3, first 2 shown]
	s_and_saveexec_b32 s1, s0
	s_cbranch_execz .LBB0_19
; %bb.18:
	v_add_f16_e32 v10, v12, v28
	v_lshlrev_b32_sdwa v11, v40, v27 dst_sel:DWORD dst_unused:UNUSED_PAD src0_sel:DWORD src1_sel:WORD_0
	v_lshlrev_b32_sdwa v12, v40, v34 dst_sel:DWORD dst_unused:UNUSED_PAD src0_sel:DWORD src1_sel:WORD_0
	v_mul_f16_e32 v13, 0x3aee, v16
	v_add_f16_e32 v10, v10, v8
	v_add3_u32 v11, 0, v11, v12
	v_add_f16_e32 v12, v13, v17
	ds_write_b16 v11, v10
	ds_write_b16 v11, v12 offset:22
	ds_write_b16 v11, v6 offset:44
.LBB0_19:
	s_or_b32 exec_lo, exec_lo, s1
	v_add_f16_e32 v10, v46, v42
	v_add_f16_e32 v11, v24, v46
	v_sub_f16_e32 v12, v21, v33
	v_add_f16_e32 v13, v45, v43
	v_add_f16_e32 v16, v25, v45
	v_fmac_f16_e32 v24, -0.5, v10
	v_add_f16_e32 v10, v44, v41
	v_sub_f16_e32 v30, v18, v19
	v_fmac_f16_e32 v25, -0.5, v13
	v_add_f16_e32 v31, v11, v42
	v_fmamk_f16 v32, v12, 0xbaee, v24
	v_fmac_f16_e32 v24, 0x3aee, v12
	v_add_f16_e32 v33, v16, v43
	v_add_f16_e32 v42, v26, v44
	v_fmac_f16_e32 v26, -0.5, v10
	v_sub_f16_e32 v43, v14, v15
	s_waitcnt lgkmcnt(0)
	s_barrier
	buffer_gl0_inv
	v_lshl_add_u32 v21, v7, 1, 0
	ds_read_u16 v10, v0
	ds_read_u16 v19, v0 offset:264
	ds_read_u16 v18, v0 offset:528
	;; [unrolled: 1-line block ×10, first 2 shown]
	v_add_f16_e32 v29, v38, v37
	v_sub_f16_e32 v28, v28, v8
	v_fmamk_f16 v40, v30, 0xbaee, v25
	v_fmac_f16_e32 v25, 0x3aee, v30
	v_add_f16_e32 v30, v42, v41
	v_fma_f16 v29, -0.5, v29, v23
	v_fmamk_f16 v41, v43, 0xbaee, v26
	v_fmac_f16_e32 v26, 0x3aee, v43
	s_waitcnt lgkmcnt(0)
	s_barrier
	v_fmamk_f16 v8, v28, 0x3aee, v29
	buffer_gl0_inv
	ds_write_b16 v39, v31
	ds_write_b16 v39, v32 offset:22
	ds_write_b16 v39, v24 offset:44
	ds_write_b16 v35, v33
	ds_write_b16 v35, v40 offset:22
	ds_write_b16 v35, v25 offset:44
	;; [unrolled: 3-line block ×3, first 2 shown]
	s_and_saveexec_b32 s1, s0
	s_cbranch_execz .LBB0_21
; %bb.20:
	v_mov_b32_e32 v24, 1
	v_add_f16_e32 v23, v23, v38
	v_mul_f16_e32 v26, 0x3aee, v28
	v_lshlrev_b32_sdwa v25, v24, v27 dst_sel:DWORD dst_unused:UNUSED_PAD src0_sel:DWORD src1_sel:WORD_0
	v_lshlrev_b32_sdwa v24, v24, v34 dst_sel:DWORD dst_unused:UNUSED_PAD src0_sel:DWORD src1_sel:WORD_0
	v_add_f16_e32 v23, v23, v37
	v_add3_u32 v24, 0, v25, v24
	v_sub_f16_e32 v25, v29, v26
	ds_write_b16 v24, v23
	ds_write_b16 v24, v25 offset:22
	ds_write_b16 v24, v8 offset:44
.LBB0_21:
	s_or_b32 exec_lo, exec_lo, s1
	v_mul_lo_u16 v22, 0xf9, v22
	v_mov_b32_e32 v24, 10
	s_waitcnt lgkmcnt(0)
	s_barrier
	buffer_gl0_inv
	v_lshrrev_b16 v22, 13, v22
	v_cmp_gt_u32_e64 s0, 0x63, v7
	v_mul_lo_u16 v23, v22, 33
	v_sub_nc_u16 v23, v7, v23
	v_mul_u32_u24_sdwa v24, v23, v24 dst_sel:DWORD dst_unused:UNUSED_PAD src0_sel:BYTE_0 src1_sel:DWORD
	v_lshlrev_b32_e32 v24, 2, v24
	s_clause 0x2
	global_load_dwordx4 v[40:43], v24, s[8:9] offset:88
	global_load_dwordx4 v[44:47], v24, s[8:9] offset:104
	global_load_dwordx2 v[48:49], v24, s[8:9] offset:120
	ds_read_u16 v25, v0 offset:264
	v_mov_b32_e32 v24, 0x2d6
	ds_read_u16 v28, v0 offset:528
	ds_read_u16 v29, v21 offset:792
	;; [unrolled: 1-line block ×4, first 2 shown]
	v_mov_b32_e32 v21, 1
	v_mul_u32_u24_sdwa v24, v22, v24 dst_sel:DWORD dst_unused:UNUSED_PAD src0_sel:WORD_0 src1_sel:DWORD
	ds_read_u16 v51, v0 offset:1584
	ds_read_u16 v52, v0 offset:1848
	;; [unrolled: 1-line block ×5, first 2 shown]
	ds_read_u16 v22, v0
	s_waitcnt vmcnt(0) lgkmcnt(0)
	s_barrier
	v_lshlrev_b32_sdwa v21, v21, v23 dst_sel:DWORD dst_unused:UNUSED_PAD src0_sel:DWORD src1_sel:BYTE_0
	buffer_gl0_inv
	v_add3_u32 v21, 0, v24, v21
	v_mul_f16_sdwa v35, v25, v40 dst_sel:DWORD dst_unused:UNUSED_PAD src0_sel:DWORD src1_sel:WORD_1
	v_mul_f16_sdwa v37, v19, v40 dst_sel:DWORD dst_unused:UNUSED_PAD src0_sel:DWORD src1_sel:WORD_1
	;; [unrolled: 1-line block ×20, first 2 shown]
	v_fma_f16 v39, v19, v40, -v35
	v_fmac_f16_e32 v37, v25, v40
	v_fmac_f16_e32 v34, v28, v41
	;; [unrolled: 1-line block ×10, first 2 shown]
	v_fma_f16 v38, v18, v41, -v38
	v_fma_f16 v35, v20, v42, -v56
	;; [unrolled: 1-line block ×9, first 2 shown]
	v_sub_f16_e32 v12, v37, v30
	v_sub_f16_e32 v14, v34, v31
	;; [unrolled: 1-line block ×5, first 2 shown]
	v_add_f16_e32 v43, v10, v39
	v_add_f16_e32 v11, v39, v41
	;; [unrolled: 1-line block ×6, first 2 shown]
	v_mul_f16_e32 v44, 0xb853, v12
	v_mul_f16_e32 v45, 0xba0c, v12
	;; [unrolled: 1-line block ×11, first 2 shown]
	v_pk_mul_f16 v12, 0xbb47bbeb, v12 op_sel_hi:[1,0]
	v_pk_mul_f16 v14, 0xba0c3482, v14 op_sel_hi:[1,0]
	;; [unrolled: 1-line block ×3, first 2 shown]
	v_mul_f16_e32 v55, 0x3b47, v18
	v_pk_mul_f16 v18, 0x3bebb853, v18 op_sel_hi:[1,0]
	v_mul_f16_e32 v56, 0xb482, v19
	v_pk_mul_f16 v57, 0x3853ba0c, v19 op_sel_hi:[1,0]
	v_mul_f16_e32 v58, 0x3b47, v19
	v_mul_f16_e32 v19, 0xbbeb, v19
	v_add_f16_e32 v43, v43, v38
	v_fma_f16 v59, v11, 0x3abb, -v44
	v_fmac_f16_e32 v44, 0x3abb, v11
	v_fma_f16 v60, v11, 0xb93d, -v45
	v_fmac_f16_e32 v45, 0xb93d, v11
	;; [unrolled: 2-line block ×9, first 2 shown]
	v_pk_fma_f16 v68, 0x36a6b08e, v11, v12 op_sel_hi:[1,0,1] neg_lo:[0,0,1] neg_hi:[0,0,1]
	v_pk_fma_f16 v11, 0x36a6b08e, v11, v12 op_sel_hi:[1,0,1]
	v_pk_fma_f16 v12, 0xb93dbbad, v13, v14 op_sel_hi:[1,0,1] neg_lo:[0,0,1] neg_hi:[0,0,1]
	v_pk_fma_f16 v13, 0xb93dbbad, v13, v14 op_sel_hi:[1,0,1]
	;; [unrolled: 2-line block ×3, first 2 shown]
	v_fma_f16 v16, v17, 0xb93d, -v53
	v_fmac_f16_e32 v53, 0xb93d, v17
	v_fma_f16 v69, v17, 0xbbad, -v54
	v_fmac_f16_e32 v54, 0xbbad, v17
	v_fma_f16 v70, v17, 0x36a6, -v55
	v_fmac_f16_e32 v55, 0x36a6, v17
	v_pk_fma_f16 v71, 0xb08e3abb, v17, v18 op_sel_hi:[1,0,1] neg_lo:[0,0,1] neg_hi:[0,0,1]
	v_pk_fma_f16 v17, 0xb08e3abb, v17, v18 op_sel_hi:[1,0,1]
	v_fma_f16 v18, v42, 0xbbad, -v56
	v_fmac_f16_e32 v56, 0xbbad, v42
	v_pk_fma_f16 v72, 0x3abbb93d, v42, v57 op_sel_hi:[1,0,1] neg_lo:[0,0,1] neg_hi:[0,0,1]
	v_pk_fma_f16 v57, 0x3abbb93d, v42, v57 op_sel_hi:[1,0,1]
	v_fma_f16 v73, v42, 0x36a6, -v58
	v_fmac_f16_e32 v58, 0x36a6, v42
	v_fma_f16 v74, v42, 0xb08e, -v19
	v_fmac_f16_e32 v19, 0xb08e, v42
	v_add_f16_e32 v42, v43, v35
	v_add_f16_e32 v43, v10, v59
	;; [unrolled: 1-line block ×7, first 2 shown]
	v_add_f16_sdwa v61, v10, v68 dst_sel:DWORD dst_unused:UNUSED_PAD src0_sel:DWORD src1_sel:WORD_1
	v_add_f16_e32 v68, v10, v68
	v_pk_add_f16 v10, v10, v11 op_sel_hi:[0,1]
	v_add_f16_e32 v11, v42, v28
	v_add_f16_e32 v42, v62, v43
	;; [unrolled: 1-line block ×4, first 2 shown]
	v_pk_add_f16 v10, v13, v10
	v_add_f16_e32 v11, v11, v20
	v_add_f16_e32 v45, v48, v45
	;; [unrolled: 1-line block ×3, first 2 shown]
	v_add_f16_sdwa v48, v12, v61 dst_sel:DWORD dst_unused:UNUSED_PAD src0_sel:WORD_1 src1_sel:DWORD
	v_add_f16_e32 v12, v12, v68
	v_add_f16_e32 v11, v11, v25
	;; [unrolled: 1-line block ×4, first 2 shown]
	v_pk_add_f16 v10, v15, v10
	v_add_f16_e32 v42, v50, v43
	v_add_f16_e32 v11, v11, v29
	v_add_f16_e32 v43, v66, v44
	v_add_f16_e32 v44, v51, v45
	v_add_f16_e32 v45, v67, v47
	v_add_f16_sdwa v47, v14, v48 dst_sel:DWORD dst_unused:UNUSED_PAD src0_sel:WORD_1 src1_sel:DWORD
	v_add_f16_e32 v12, v14, v12
	v_add_f16_e32 v46, v52, v46
	;; [unrolled: 1-line block ×3, first 2 shown]
	v_pk_add_f16 v10, v17, v10
	v_add_f16_e32 v17, v11, v36
	v_add_f16_e32 v14, v53, v42
	;; [unrolled: 1-line block ×3, first 2 shown]
	v_add_f16_sdwa v44, v71, v47 dst_sel:DWORD dst_unused:UNUSED_PAD src0_sel:WORD_1 src1_sel:DWORD
	v_add_f16_e32 v12, v71, v12
	v_add_f16_e32 v15, v69, v43
	;; [unrolled: 1-line block ×7, first 2 shown]
	v_add_f16_sdwa v14, v72, v44 dst_sel:DWORD dst_unused:UNUSED_PAD src0_sel:WORD_1 src1_sel:DWORD
	v_add_f16_e32 v16, v58, v16
	v_add_f16_e32 v12, v72, v12
	v_pk_add_f16 v10, v57, v10
	v_add_f16_e32 v15, v73, v15
	v_add_f16_e32 v18, v74, v42
	;; [unrolled: 1-line block ×3, first 2 shown]
	ds_write_b16 v21, v13 offset:66
	ds_write_b16 v21, v14 offset:132
	;; [unrolled: 1-line block ×6, first 2 shown]
	v_add_f16_e32 v12, v17, v41
	ds_write_b16 v21, v16 offset:462
	ds_write_b16 v21, v10 offset:528
	ds_write_b16_d16_hi v21, v10 offset:594
	ds_write_b16 v21, v11 offset:660
	ds_write_b16 v21, v12
	s_waitcnt lgkmcnt(0)
	s_barrier
	buffer_gl0_inv
	ds_read_u16 v12, v0
	ds_read_u16 v16, v0 offset:2442
	ds_read_u16 v14, v0 offset:2178
	;; [unrolled: 1-line block ×7, first 2 shown]
	s_and_saveexec_b32 s1, s0
	s_cbranch_execz .LBB0_23
; %bb.22:
	ds_read_u16 v10, v0 offset:528
	ds_read_u16 v11, v0 offset:1980
	s_waitcnt lgkmcnt(1)
	ds_read_u16_d16_hi v10, v0 offset:1254
	ds_read_u16 v6, v0 offset:2706
.LBB0_23:
	s_or_b32 exec_lo, exec_lo, s1
	v_add_f16_e32 v42, v22, v37
	v_sub_f16_e32 v39, v39, v41
	v_add_f16_e32 v41, v34, v31
	v_sub_f16_e32 v38, v38, v40
	v_add_f16_e32 v40, v33, v32
	v_add_f16_e32 v34, v42, v34
	;; [unrolled: 1-line block ×3, first 2 shown]
	v_sub_f16_e32 v35, v35, v36
	v_mul_f16_e32 v36, 0xbb47, v39
	v_mul_f16_e32 v42, 0xba0c, v39
	v_add_f16_e32 v33, v34, v33
	v_mul_f16_e32 v34, 0xb482, v39
	v_mul_f16_e32 v43, 0xba0c, v38
	;; [unrolled: 1-line block ×4, first 2 shown]
	v_add_f16_e32 v33, v33, v26
	v_fmamk_f16 v47, v37, 0x36a6, v36
	v_fma_f16 v36, v37, 0x36a6, -v36
	v_fmamk_f16 v48, v37, 0xb93d, v42
	v_fma_f16 v42, v37, 0xb93d, -v42
	v_add_f16_e32 v33, v33, v23
	v_fmamk_f16 v49, v37, 0xbbad, v34
	v_fma_f16 v34, v37, 0xbbad, -v34
	v_mul_f16_e32 v46, 0x3482, v35
	v_fmamk_f16 v50, v41, 0xb93d, v43
	v_add_f16_e32 v33, v33, v24
	v_fma_f16 v43, v41, 0xb93d, -v43
	v_fmamk_f16 v51, v41, 0xb08e, v44
	v_fma_f16 v44, v41, 0xb08e, -v44
	v_fmamk_f16 v52, v41, 0x3abb, v45
	v_add_f16_e32 v33, v33, v27
	v_fma_f16 v45, v41, 0x3abb, -v45
	v_add_f16_e32 v36, v22, v36
	v_add_f16_e32 v42, v22, v42
	;; [unrolled: 1-line block ×7, first 2 shown]
	v_fma_f16 v43, v40, 0xbbad, -v46
	v_add_f16_e32 v31, v32, v31
	v_add_f16_e32 v34, v45, v34
	v_sub_f16_e32 v28, v28, v29
	v_add_f16_e32 v47, v22, v47
	v_add_f16_e32 v33, v51, v33
	;; [unrolled: 1-line block ×3, first 2 shown]
	v_mul_f16_e32 v31, 0xb853, v35
	v_add_f16_e32 v36, v43, v36
	v_add_f16_e32 v26, v26, v27
	v_mul_f16_e32 v43, 0xb482, v28
	v_mul_f16_e32 v27, 0x3beb, v28
	v_fmamk_f16 v45, v40, 0x3abb, v31
	v_fma_f16 v29, v40, 0x3abb, -v31
	v_mul_f16_e32 v31, 0xba0c, v35
	v_fmamk_f16 v53, v40, 0xbbad, v46
	v_add_f16_e32 v32, v50, v47
	v_add_f16_e32 v33, v45, v33
	;; [unrolled: 1-line block ×3, first 2 shown]
	v_fmamk_f16 v42, v40, 0xb93d, v31
	v_fma_f16 v31, v40, 0xb93d, -v31
	v_sub_f16_e32 v25, v20, v25
	v_fmamk_f16 v45, v26, 0xb08e, v27
	v_fma_f16 v27, v26, 0xb08e, -v27
	v_mul_f16_e32 v20, 0x3b47, v28
	v_add_f16_e32 v31, v31, v34
	v_fmamk_f16 v34, v26, 0xbbad, v43
	v_add_f16_e32 v32, v53, v32
	v_add_f16_e32 v23, v23, v24
	v_mul_f16_e32 v24, 0x3853, v25
	v_add_f16_e32 v27, v27, v36
	v_add_f16_e32 v33, v34, v33
	v_fma_f16 v34, v26, 0xbbad, -v43
	v_fmamk_f16 v36, v26, 0x36a6, v20
	v_fma_f16 v20, v26, 0x36a6, -v20
	v_pk_mul_f16 v39, 0xb853bbeb, v39 op_sel_hi:[1,0]
	v_add_f16_e32 v32, v45, v32
	v_add_f16_e32 v29, v34, v29
	v_fmamk_f16 v34, v23, 0x3abb, v24
	v_add_f16_e32 v31, v20, v31
	v_pk_fma_f16 v20, 0x3abbb08e, v37, v39 op_sel_hi:[1,0,1]
	v_pk_mul_f16 v38, 0xbb473482, v38 op_sel_hi:[1,0]
	v_pk_mul_f16 v35, 0xbbeb3b47, v35 op_sel_hi:[1,0]
	v_add_f16_e32 v32, v34, v32
	v_pk_fma_f16 v34, 0x3abbb08e, v37, v39 op_sel_hi:[1,0,1] neg_lo:[0,0,1] neg_hi:[0,0,1]
	v_add_f16_sdwa v37, v22, v20 dst_sel:DWORD dst_unused:UNUSED_PAD src0_sel:DWORD src1_sel:WORD_1
	v_pk_fma_f16 v39, 0x36a6bbad, v41, v38 op_sel_hi:[1,0,1]
	v_add_f16_e32 v48, v22, v49
	v_add_f16_e32 v20, v22, v20
	v_pk_add_f16 v22, v22, v34 op_sel_hi:[0,1]
	v_pk_fma_f16 v34, 0x36a6bbad, v41, v38 op_sel_hi:[1,0,1] neg_lo:[0,0,1] neg_hi:[0,0,1]
	v_add_f16_sdwa v37, v39, v37 dst_sel:DWORD dst_unused:UNUSED_PAD src0_sel:WORD_1 src1_sel:DWORD
	v_pk_fma_f16 v38, 0xb08e36a6, v40, v35 op_sel_hi:[1,0,1]
	v_pk_mul_f16 v28, 0xba0cb853, v28 op_sel_hi:[1,0]
	v_add_f16_e32 v20, v39, v20
	v_pk_add_f16 v22, v34, v22
	v_pk_fma_f16 v34, 0xb08e36a6, v40, v35 op_sel_hi:[1,0,1] neg_lo:[0,0,1] neg_hi:[0,0,1]
	v_add_f16_sdwa v35, v38, v37 dst_sel:DWORD dst_unused:UNUSED_PAD src0_sel:WORD_1 src1_sel:DWORD
	v_pk_fma_f16 v37, 0xb93d3abb, v26, v28 op_sel_hi:[1,0,1]
	v_pk_mul_f16 v39, 0xb482ba0c, v25 op_sel_hi:[1,0]
	v_fma_f16 v24, v23, 0x3abb, -v24
	v_add_f16_e32 v38, v38, v20
	v_pk_add_f16 v22, v34, v22
	v_pk_fma_f16 v26, 0xb93d3abb, v26, v28 op_sel_hi:[1,0,1] neg_lo:[0,0,1] neg_hi:[0,0,1]
	v_add_f16_e32 v44, v52, v48
	v_add_f16_sdwa v28, v37, v35 dst_sel:DWORD dst_unused:UNUSED_PAD src0_sel:WORD_1 src1_sel:DWORD
	v_pk_fma_f16 v34, 0xbbadb93d, v23, v39 op_sel_hi:[1,0,1]
	v_add_f16_e32 v20, v24, v27
	v_add_f16_e32 v24, v37, v38
	v_pk_add_f16 v22, v26, v22
	v_mul_f16_e32 v26, 0x3b47, v25
	v_mul_f16_e32 v25, 0xbbeb, v25
	v_add_f16_e32 v42, v42, v44
	v_add_f16_sdwa v27, v34, v28 dst_sel:DWORD dst_unused:UNUSED_PAD src0_sel:WORD_1 src1_sel:DWORD
	v_pk_fma_f16 v28, 0xbbadb93d, v23, v39 op_sel_hi:[1,0,1] neg_lo:[0,0,1] neg_hi:[0,0,1]
	v_add_f16_e32 v24, v34, v24
	v_fmamk_f16 v34, v23, 0x36a6, v26
	v_fma_f16 v26, v23, 0x36a6, -v26
	v_fmamk_f16 v35, v23, 0xb08e, v25
	v_fma_f16 v23, v23, 0xb08e, -v25
	v_add_f16_e32 v36, v36, v42
	v_pk_add_f16 v22, v28, v22
	v_add_f16_e32 v26, v26, v29
	v_add_f16_e32 v25, v34, v33
	;; [unrolled: 1-line block ×4, first 2 shown]
	v_lshrrev_b32_e32 v23, 16, v22
	s_waitcnt lgkmcnt(0)
	s_barrier
	buffer_gl0_inv
	ds_write_b16 v21, v30
	ds_write_b16 v21, v27 offset:66
	ds_write_b16 v21, v32 offset:132
	;; [unrolled: 1-line block ×10, first 2 shown]
	s_waitcnt lgkmcnt(0)
	s_barrier
	buffer_gl0_inv
	ds_read_u16 v21, v0
	ds_read_u16 v28, v0 offset:2442
	ds_read_u16 v25, v0 offset:2178
	;; [unrolled: 1-line block ×7, first 2 shown]
	s_and_saveexec_b32 s1, s0
	s_cbranch_execz .LBB0_25
; %bb.24:
	ds_read_u16 v22, v0 offset:528
	ds_read_u16 v20, v0 offset:1254
	;; [unrolled: 1-line block ×4, first 2 shown]
.LBB0_25:
	s_or_b32 exec_lo, exec_lo, s1
	s_and_saveexec_b32 s1, vcc_lo
	s_cbranch_execz .LBB0_28
; %bb.26:
	v_mul_u32_u24_e32 v0, 3, v9
	v_mul_u32_u24_e32 v9, 3, v7
	v_add_nc_u32_e32 v40, 0x84, v7
	v_mul_lo_u32 v39, s3, v3
	v_mul_lo_u32 v42, s2, v4
	v_lshlrev_b32_e32 v0, 2, v0
	v_mad_u64_u32 v[3:4], null, s2, v3, 0
	v_mul_hi_u32 v41, 0x691473a9, v40
	v_lshlrev_b64 v[37:38], 2, v[1:2]
	global_load_dwordx3 v[31:33], v0, s[8:9] offset:1408
	v_lshlrev_b32_e32 v0, 2, v9
	v_mov_b32_e32 v1, 0
	v_add_nc_u32_e32 v2, 0x108, v7
	v_add3_u32 v4, v4, v42, v39
	global_load_dwordx3 v[34:36], v0, s[8:9] offset:1408
	v_mul_hi_u32 v0, 0x691473a9, v7
	v_sub_nc_u32_e32 v43, v40, v41
	v_lshlrev_b64 v[3:4], 2, v[3:4]
	v_mov_b32_e32 v39, v1
	v_cmp_gt_u32_e32 vcc_lo, 0x16b, v2
	v_add_co_u32 v3, s1, s14, v3
	v_sub_nc_u32_e32 v9, v7, v0
	v_lshrrev_b32_e32 v9, 1, v9
	v_add_nc_u32_e32 v0, v9, v0
	v_lshrrev_b32_e32 v9, 1, v43
	v_lshrrev_b32_e32 v0, 8, v0
	v_add_nc_u32_e32 v9, v9, v41
	v_mov_b32_e32 v41, v1
	v_mul_u32_u24_e32 v0, 0x16b, v0
	v_lshrrev_b32_e32 v44, 8, v9
	v_add_co_ci_u32_e64 v9, s1, s15, v4, s1
	v_add_co_u32 v4, s1, v3, v37
	v_sub_nc_u32_e32 v0, v7, v0
	v_mul_u32_u24_e32 v42, 0x16b, v44
	v_add_co_ci_u32_e64 v9, s1, v9, v38, s1
	v_lshlrev_b32_e32 v0, 2, v0
	v_sub_nc_u32_e32 v3, v40, v42
	v_add_co_u32 v42, s1, v4, v0
	v_mad_u32_u24 v0, 0x5ac, v44, v3
	v_add_co_ci_u32_e64 v43, s1, 0, v9, s1
	v_add_co_u32 v44, s1, 0x800, v42
	v_lshlrev_b64 v[46:47], 2, v[0:1]
	v_add_nc_u32_e32 v38, 0x16b, v0
	v_add_nc_u32_e32 v40, 0x2d6, v0
	;; [unrolled: 1-line block ×3, first 2 shown]
	v_add_co_ci_u32_e64 v45, s1, 0, v43, s1
	v_lshlrev_b64 v[37:38], 2, v[38:39]
	v_lshlrev_b64 v[39:40], 2, v[40:41]
	v_lshlrev_b64 v[50:51], 2, v[0:1]
	v_add_co_u32 v48, s1, 0x1000, v42
	v_add_co_ci_u32_e64 v49, s1, 0, v43, s1
	v_add_co_u32 v46, s1, v4, v46
	v_add_co_ci_u32_e64 v47, s1, v9, v47, s1
	;; [unrolled: 2-line block ×5, first 2 shown]
	s_waitcnt vmcnt(1)
	v_mul_f16_sdwa v52, v19, v32 dst_sel:DWORD dst_unused:UNUSED_PAD src0_sel:DWORD src1_sel:WORD_1
	s_waitcnt lgkmcnt(2)
	v_mul_f16_sdwa v53, v30, v31 dst_sel:DWORD dst_unused:UNUSED_PAD src0_sel:DWORD src1_sel:WORD_1
	v_mul_f16_sdwa v54, v28, v33 dst_sel:DWORD dst_unused:UNUSED_PAD src0_sel:DWORD src1_sel:WORD_1
	;; [unrolled: 1-line block ×5, first 2 shown]
	s_waitcnt vmcnt(0)
	v_mul_f16_sdwa v55, v26, v35 dst_sel:DWORD dst_unused:UNUSED_PAD src0_sel:DWORD src1_sel:WORD_1
	v_mul_f16_sdwa v56, v15, v34 dst_sel:DWORD dst_unused:UNUSED_PAD src0_sel:DWORD src1_sel:WORD_1
	;; [unrolled: 1-line block ×4, first 2 shown]
	s_waitcnt lgkmcnt(1)
	v_mul_f16_sdwa v59, v27, v34 dst_sel:DWORD dst_unused:UNUSED_PAD src0_sel:DWORD src1_sel:WORD_1
	v_mul_f16_sdwa v60, v25, v36 dst_sel:DWORD dst_unused:UNUSED_PAD src0_sel:DWORD src1_sel:WORD_1
	v_fmac_f16_e32 v52, v29, v32
	v_fma_f16 v18, v18, v31, -v53
	v_fma_f16 v16, v16, v33, -v54
	;; [unrolled: 1-line block ×3, first 2 shown]
	v_fmac_f16_e32 v56, v27, v34
	v_fmac_f16_e32 v57, v25, v36
	v_fmac_f16_e32 v58, v26, v35
	v_fma_f16 v15, v15, v34, -v59
	v_fma_f16 v14, v14, v36, -v60
	;; [unrolled: 1-line block ×3, first 2 shown]
	v_fmac_f16_e32 v3, v30, v31
	v_fmac_f16_e32 v41, v28, v33
	s_waitcnt lgkmcnt(0)
	v_sub_f16_e32 v25, v24, v52
	v_sub_f16_e32 v16, v18, v16
	v_sub_f16_e32 v17, v12, v17
	v_sub_f16_e32 v26, v56, v57
	v_sub_f16_e32 v27, v21, v58
	v_sub_f16_e32 v14, v15, v14
	v_sub_f16_e32 v0, v13, v0
	v_sub_f16_e32 v19, v3, v41
	v_add_f16_e32 v29, v25, v16
	v_fma_f16 v16, v18, 2.0, -v16
	v_fma_f16 v18, v24, 2.0, -v25
	v_add_f16_e32 v24, v27, v14
	v_fma_f16 v12, v12, 2.0, -v17
	v_fma_f16 v14, v15, 2.0, -v14
	;; [unrolled: 1-line block ×6, first 2 shown]
	v_sub_f16_e32 v28, v0, v19
	v_sub_f16_e32 v19, v17, v26
	;; [unrolled: 1-line block ×6, first 2 shown]
	v_fma_f16 v17, v17, 2.0, -v19
	v_fma_f16 v26, v27, 2.0, -v24
	;; [unrolled: 1-line block ×8, first 2 shown]
	v_pack_b32_f16 v19, v19, v24
	v_pack_b32_f16 v17, v17, v26
	v_pack_b32_f16 v14, v14, v21
	v_pack_b32_f16 v12, v12, v15
	v_pack_b32_f16 v13, v13, v18
	v_pack_b32_f16 v0, v0, v25
	v_pack_b32_f16 v24, v28, v29
	global_store_dword v[48:49], v19, off offset:260
	v_pack_b32_f16 v3, v16, v3
	global_store_dword v[42:43], v17, off offset:1452
	global_store_dword v[44:45], v14, off offset:856
	global_store_dword v[42:43], v12, off
	global_store_dword v[46:47], v13, off
	;; [unrolled: 1-line block ×5, first 2 shown]
	s_and_b32 exec_lo, exec_lo, vcc_lo
	s_cbranch_execz .LBB0_28
; %bb.27:
	v_add_nc_u32_e32 v0, 0xffffff9d, v7
	v_mov_b32_e32 v3, v1
	v_cndmask_b32_e64 v0, v0, v5, s0
	v_lshrrev_b32_e32 v5, 16, v10
	v_lshlrev_b64 v[2:3], 2, v[2:3]
	v_mul_i32_i24_e32 v0, 3, v0
	v_lshlrev_b64 v[12:13], 2, v[0:1]
	v_add_nc_u32_e32 v0, 0x273, v7
	v_lshlrev_b64 v[15:16], 2, v[0:1]
	v_add_co_u32 v12, vcc_lo, s8, v12
	v_add_co_ci_u32_e32 v13, vcc_lo, s9, v13, vcc_lo
	v_add_nc_u32_e32 v0, 0x3de, v7
	v_add_co_u32 v2, vcc_lo, v4, v2
	global_load_dwordx3 v[12:14], v[12:13], off offset:1408
	v_add_co_ci_u32_e32 v3, vcc_lo, v9, v3, vcc_lo
	v_lshlrev_b64 v[17:18], 2, v[0:1]
	s_waitcnt vmcnt(0)
	v_mul_f16_sdwa v0, v20, v12 dst_sel:DWORD dst_unused:UNUSED_PAD src0_sel:DWORD src1_sel:WORD_1
	v_mul_f16_sdwa v19, v5, v12 dst_sel:DWORD dst_unused:UNUSED_PAD src0_sel:DWORD src1_sel:WORD_1
	;; [unrolled: 1-line block ×6, first 2 shown]
	v_fma_f16 v27, v5, v12, -v0
	v_fmac_f16_e32 v19, v20, v12
	v_fma_f16 v5, v11, v13, -v21
	v_fmac_f16_e32 v24, v23, v13
	;; [unrolled: 2-line block ×3, first 2 shown]
	v_add_nc_u32_e32 v0, 0x549, v7
	v_sub_f16_e32 v11, v10, v5
	v_sub_f16_e32 v12, v22, v24
	;; [unrolled: 1-line block ×4, first 2 shown]
	v_add_co_u32 v5, vcc_lo, v4, v15
	v_fma_f16 v10, v10, 2.0, -v11
	v_fma_f16 v13, v22, 2.0, -v12
	;; [unrolled: 1-line block ×4, first 2 shown]
	v_add_co_ci_u32_e32 v6, vcc_lo, v9, v16, vcc_lo
	v_sub_f16_e32 v16, v11, v8
	v_add_f16_e32 v19, v12, v7
	v_sub_f16_e32 v14, v10, v14
	v_sub_f16_e32 v15, v13, v15
	v_lshlrev_b64 v[0:1], 2, v[0:1]
	v_fma_f16 v11, v11, 2.0, -v16
	v_fma_f16 v12, v12, 2.0, -v19
	v_add_co_u32 v7, vcc_lo, v4, v17
	v_fma_f16 v10, v10, 2.0, -v14
	v_fma_f16 v13, v13, 2.0, -v15
	v_add_co_ci_u32_e32 v8, vcc_lo, v9, v18, vcc_lo
	v_add_co_u32 v0, vcc_lo, v4, v0
	v_pack_b32_f16 v4, v11, v12
	v_add_co_ci_u32_e32 v1, vcc_lo, v9, v1, vcc_lo
	v_pack_b32_f16 v9, v14, v15
	v_pack_b32_f16 v10, v10, v13
	;; [unrolled: 1-line block ×3, first 2 shown]
	global_store_dword v[5:6], v4, off
	global_store_dword v[7:8], v9, off
	;; [unrolled: 1-line block ×4, first 2 shown]
.LBB0_28:
	s_endpgm
	.section	.rodata,"a",@progbits
	.p2align	6, 0x0
	.amdhsa_kernel fft_rtc_fwd_len1452_factors_11_3_11_4_wgs_132_tpt_132_halfLds_half_op_CI_CI_unitstride_sbrr_dirReg
		.amdhsa_group_segment_fixed_size 0
		.amdhsa_private_segment_fixed_size 0
		.amdhsa_kernarg_size 104
		.amdhsa_user_sgpr_count 6
		.amdhsa_user_sgpr_private_segment_buffer 1
		.amdhsa_user_sgpr_dispatch_ptr 0
		.amdhsa_user_sgpr_queue_ptr 0
		.amdhsa_user_sgpr_kernarg_segment_ptr 1
		.amdhsa_user_sgpr_dispatch_id 0
		.amdhsa_user_sgpr_flat_scratch_init 0
		.amdhsa_user_sgpr_private_segment_size 0
		.amdhsa_wavefront_size32 1
		.amdhsa_uses_dynamic_stack 0
		.amdhsa_system_sgpr_private_segment_wavefront_offset 0
		.amdhsa_system_sgpr_workgroup_id_x 1
		.amdhsa_system_sgpr_workgroup_id_y 0
		.amdhsa_system_sgpr_workgroup_id_z 0
		.amdhsa_system_sgpr_workgroup_info 0
		.amdhsa_system_vgpr_workitem_id 0
		.amdhsa_next_free_vgpr 75
		.amdhsa_next_free_sgpr 27
		.amdhsa_reserve_vcc 1
		.amdhsa_reserve_flat_scratch 0
		.amdhsa_float_round_mode_32 0
		.amdhsa_float_round_mode_16_64 0
		.amdhsa_float_denorm_mode_32 3
		.amdhsa_float_denorm_mode_16_64 3
		.amdhsa_dx10_clamp 1
		.amdhsa_ieee_mode 1
		.amdhsa_fp16_overflow 0
		.amdhsa_workgroup_processor_mode 1
		.amdhsa_memory_ordered 1
		.amdhsa_forward_progress 0
		.amdhsa_shared_vgpr_count 0
		.amdhsa_exception_fp_ieee_invalid_op 0
		.amdhsa_exception_fp_denorm_src 0
		.amdhsa_exception_fp_ieee_div_zero 0
		.amdhsa_exception_fp_ieee_overflow 0
		.amdhsa_exception_fp_ieee_underflow 0
		.amdhsa_exception_fp_ieee_inexact 0
		.amdhsa_exception_int_div_zero 0
	.end_amdhsa_kernel
	.text
.Lfunc_end0:
	.size	fft_rtc_fwd_len1452_factors_11_3_11_4_wgs_132_tpt_132_halfLds_half_op_CI_CI_unitstride_sbrr_dirReg, .Lfunc_end0-fft_rtc_fwd_len1452_factors_11_3_11_4_wgs_132_tpt_132_halfLds_half_op_CI_CI_unitstride_sbrr_dirReg
                                        ; -- End function
	.section	.AMDGPU.csdata,"",@progbits
; Kernel info:
; codeLenInByte = 9324
; NumSgprs: 29
; NumVgprs: 75
; ScratchSize: 0
; MemoryBound: 0
; FloatMode: 240
; IeeeMode: 1
; LDSByteSize: 0 bytes/workgroup (compile time only)
; SGPRBlocks: 3
; VGPRBlocks: 9
; NumSGPRsForWavesPerEU: 29
; NumVGPRsForWavesPerEU: 75
; Occupancy: 12
; WaveLimiterHint : 1
; COMPUTE_PGM_RSRC2:SCRATCH_EN: 0
; COMPUTE_PGM_RSRC2:USER_SGPR: 6
; COMPUTE_PGM_RSRC2:TRAP_HANDLER: 0
; COMPUTE_PGM_RSRC2:TGID_X_EN: 1
; COMPUTE_PGM_RSRC2:TGID_Y_EN: 0
; COMPUTE_PGM_RSRC2:TGID_Z_EN: 0
; COMPUTE_PGM_RSRC2:TIDIG_COMP_CNT: 0
	.text
	.p2alignl 6, 3214868480
	.fill 48, 4, 3214868480
	.type	__hip_cuid_4a279b7e79a81983,@object ; @__hip_cuid_4a279b7e79a81983
	.section	.bss,"aw",@nobits
	.globl	__hip_cuid_4a279b7e79a81983
__hip_cuid_4a279b7e79a81983:
	.byte	0                               ; 0x0
	.size	__hip_cuid_4a279b7e79a81983, 1

	.ident	"AMD clang version 19.0.0git (https://github.com/RadeonOpenCompute/llvm-project roc-6.4.0 25133 c7fe45cf4b819c5991fe208aaa96edf142730f1d)"
	.section	".note.GNU-stack","",@progbits
	.addrsig
	.addrsig_sym __hip_cuid_4a279b7e79a81983
	.amdgpu_metadata
---
amdhsa.kernels:
  - .args:
      - .actual_access:  read_only
        .address_space:  global
        .offset:         0
        .size:           8
        .value_kind:     global_buffer
      - .offset:         8
        .size:           8
        .value_kind:     by_value
      - .actual_access:  read_only
        .address_space:  global
        .offset:         16
        .size:           8
        .value_kind:     global_buffer
      - .actual_access:  read_only
        .address_space:  global
        .offset:         24
        .size:           8
        .value_kind:     global_buffer
      - .actual_access:  read_only
        .address_space:  global
        .offset:         32
        .size:           8
        .value_kind:     global_buffer
      - .offset:         40
        .size:           8
        .value_kind:     by_value
      - .actual_access:  read_only
        .address_space:  global
        .offset:         48
        .size:           8
        .value_kind:     global_buffer
      - .actual_access:  read_only
        .address_space:  global
        .offset:         56
        .size:           8
        .value_kind:     global_buffer
      - .offset:         64
        .size:           4
        .value_kind:     by_value
      - .actual_access:  read_only
        .address_space:  global
        .offset:         72
        .size:           8
        .value_kind:     global_buffer
      - .actual_access:  read_only
        .address_space:  global
        .offset:         80
        .size:           8
        .value_kind:     global_buffer
      - .actual_access:  read_only
        .address_space:  global
        .offset:         88
        .size:           8
        .value_kind:     global_buffer
      - .actual_access:  write_only
        .address_space:  global
        .offset:         96
        .size:           8
        .value_kind:     global_buffer
    .group_segment_fixed_size: 0
    .kernarg_segment_align: 8
    .kernarg_segment_size: 104
    .language:       OpenCL C
    .language_version:
      - 2
      - 0
    .max_flat_workgroup_size: 132
    .name:           fft_rtc_fwd_len1452_factors_11_3_11_4_wgs_132_tpt_132_halfLds_half_op_CI_CI_unitstride_sbrr_dirReg
    .private_segment_fixed_size: 0
    .sgpr_count:     29
    .sgpr_spill_count: 0
    .symbol:         fft_rtc_fwd_len1452_factors_11_3_11_4_wgs_132_tpt_132_halfLds_half_op_CI_CI_unitstride_sbrr_dirReg.kd
    .uniform_work_group_size: 1
    .uses_dynamic_stack: false
    .vgpr_count:     75
    .vgpr_spill_count: 0
    .wavefront_size: 32
    .workgroup_processor_mode: 1
amdhsa.target:   amdgcn-amd-amdhsa--gfx1030
amdhsa.version:
  - 1
  - 2
...

	.end_amdgpu_metadata
